;; amdgpu-corpus repo=ROCm/rocFFT kind=compiled arch=gfx906 opt=O3
	.text
	.amdgcn_target "amdgcn-amd-amdhsa--gfx906"
	.amdhsa_code_object_version 6
	.protected	fft_rtc_fwd_len286_factors_13_11_2_wgs_52_tpt_26_half_ip_CI_sbrr_dirReg ; -- Begin function fft_rtc_fwd_len286_factors_13_11_2_wgs_52_tpt_26_half_ip_CI_sbrr_dirReg
	.globl	fft_rtc_fwd_len286_factors_13_11_2_wgs_52_tpt_26_half_ip_CI_sbrr_dirReg
	.p2align	8
	.type	fft_rtc_fwd_len286_factors_13_11_2_wgs_52_tpt_26_half_ip_CI_sbrr_dirReg,@function
fft_rtc_fwd_len286_factors_13_11_2_wgs_52_tpt_26_half_ip_CI_sbrr_dirReg: ; @fft_rtc_fwd_len286_factors_13_11_2_wgs_52_tpt_26_half_ip_CI_sbrr_dirReg
; %bb.0:
	s_load_dwordx2 s[2:3], s[4:5], 0x18
	s_load_dwordx4 s[8:11], s[4:5], 0x0
	s_load_dwordx2 s[14:15], s[4:5], 0x50
	v_mul_u32_u24_e32 v1, 0x9d9, v0
	v_lshrrev_b32_e32 v9, 16, v1
	s_waitcnt lgkmcnt(0)
	s_load_dwordx2 s[12:13], s[2:3], 0x0
	v_cmp_lt_u64_e64 s[0:1], s[10:11], 2
	v_mov_b32_e32 v3, 0
	v_mov_b32_e32 v1, 0
	v_lshl_add_u32 v5, s6, 1, v9
	v_mov_b32_e32 v6, v3
	s_and_b64 vcc, exec, s[0:1]
	v_mov_b32_e32 v2, 0
	s_cbranch_vccnz .LBB0_8
; %bb.1:
	s_load_dwordx2 s[0:1], s[4:5], 0x10
	s_add_u32 s6, s2, 8
	s_addc_u32 s7, s3, 0
	v_mov_b32_e32 v1, 0
	v_mov_b32_e32 v2, 0
	s_waitcnt lgkmcnt(0)
	s_add_u32 s16, s0, 8
	s_addc_u32 s17, s1, 0
	s_mov_b64 s[18:19], 1
.LBB0_2:                                ; =>This Inner Loop Header: Depth=1
	s_load_dwordx2 s[20:21], s[16:17], 0x0
                                        ; implicit-def: $vgpr7_vgpr8
	s_waitcnt lgkmcnt(0)
	v_or_b32_e32 v4, s21, v6
	v_cmp_ne_u64_e32 vcc, 0, v[3:4]
	s_and_saveexec_b64 s[0:1], vcc
	s_xor_b64 s[22:23], exec, s[0:1]
	s_cbranch_execz .LBB0_4
; %bb.3:                                ;   in Loop: Header=BB0_2 Depth=1
	v_cvt_f32_u32_e32 v4, s20
	v_cvt_f32_u32_e32 v7, s21
	s_sub_u32 s0, 0, s20
	s_subb_u32 s1, 0, s21
	v_mac_f32_e32 v4, 0x4f800000, v7
	v_rcp_f32_e32 v4, v4
	v_mul_f32_e32 v4, 0x5f7ffffc, v4
	v_mul_f32_e32 v7, 0x2f800000, v4
	v_trunc_f32_e32 v7, v7
	v_mac_f32_e32 v4, 0xcf800000, v7
	v_cvt_u32_f32_e32 v7, v7
	v_cvt_u32_f32_e32 v4, v4
	v_mul_lo_u32 v8, s0, v7
	v_mul_hi_u32 v10, s0, v4
	v_mul_lo_u32 v12, s1, v4
	v_mul_lo_u32 v11, s0, v4
	v_add_u32_e32 v8, v10, v8
	v_add_u32_e32 v8, v8, v12
	v_mul_hi_u32 v10, v4, v11
	v_mul_lo_u32 v12, v4, v8
	v_mul_hi_u32 v14, v4, v8
	v_mul_hi_u32 v13, v7, v11
	v_mul_lo_u32 v11, v7, v11
	v_mul_hi_u32 v15, v7, v8
	v_add_co_u32_e32 v10, vcc, v10, v12
	v_addc_co_u32_e32 v12, vcc, 0, v14, vcc
	v_mul_lo_u32 v8, v7, v8
	v_add_co_u32_e32 v10, vcc, v10, v11
	v_addc_co_u32_e32 v10, vcc, v12, v13, vcc
	v_addc_co_u32_e32 v11, vcc, 0, v15, vcc
	v_add_co_u32_e32 v8, vcc, v10, v8
	v_addc_co_u32_e32 v10, vcc, 0, v11, vcc
	v_add_co_u32_e32 v4, vcc, v4, v8
	v_addc_co_u32_e32 v7, vcc, v7, v10, vcc
	v_mul_lo_u32 v8, s0, v7
	v_mul_hi_u32 v10, s0, v4
	v_mul_lo_u32 v11, s1, v4
	v_mul_lo_u32 v12, s0, v4
	v_add_u32_e32 v8, v10, v8
	v_add_u32_e32 v8, v8, v11
	v_mul_lo_u32 v13, v4, v8
	v_mul_hi_u32 v14, v4, v12
	v_mul_hi_u32 v15, v4, v8
	v_mul_hi_u32 v11, v7, v12
	v_mul_lo_u32 v12, v7, v12
	v_mul_hi_u32 v10, v7, v8
	v_add_co_u32_e32 v13, vcc, v14, v13
	v_addc_co_u32_e32 v14, vcc, 0, v15, vcc
	v_mul_lo_u32 v8, v7, v8
	v_add_co_u32_e32 v12, vcc, v13, v12
	v_addc_co_u32_e32 v11, vcc, v14, v11, vcc
	v_addc_co_u32_e32 v10, vcc, 0, v10, vcc
	v_add_co_u32_e32 v8, vcc, v11, v8
	v_addc_co_u32_e32 v10, vcc, 0, v10, vcc
	v_add_co_u32_e32 v4, vcc, v4, v8
	v_addc_co_u32_e32 v10, vcc, v7, v10, vcc
	v_mad_u64_u32 v[7:8], s[0:1], v5, v10, 0
	v_mul_hi_u32 v11, v5, v4
	v_add_co_u32_e32 v12, vcc, v11, v7
	v_addc_co_u32_e32 v13, vcc, 0, v8, vcc
	v_mad_u64_u32 v[7:8], s[0:1], v6, v4, 0
	v_mad_u64_u32 v[10:11], s[0:1], v6, v10, 0
	v_add_co_u32_e32 v4, vcc, v12, v7
	v_addc_co_u32_e32 v4, vcc, v13, v8, vcc
	v_addc_co_u32_e32 v7, vcc, 0, v11, vcc
	v_add_co_u32_e32 v4, vcc, v4, v10
	v_addc_co_u32_e32 v10, vcc, 0, v7, vcc
	v_mul_lo_u32 v11, s21, v4
	v_mul_lo_u32 v12, s20, v10
	v_mad_u64_u32 v[7:8], s[0:1], s20, v4, 0
	v_add3_u32 v8, v8, v12, v11
	v_sub_u32_e32 v11, v6, v8
	v_mov_b32_e32 v12, s21
	v_sub_co_u32_e32 v7, vcc, v5, v7
	v_subb_co_u32_e64 v11, s[0:1], v11, v12, vcc
	v_subrev_co_u32_e64 v12, s[0:1], s20, v7
	v_subbrev_co_u32_e64 v11, s[0:1], 0, v11, s[0:1]
	v_cmp_le_u32_e64 s[0:1], s21, v11
	v_cndmask_b32_e64 v13, 0, -1, s[0:1]
	v_cmp_le_u32_e64 s[0:1], s20, v12
	v_cndmask_b32_e64 v12, 0, -1, s[0:1]
	v_cmp_eq_u32_e64 s[0:1], s21, v11
	v_cndmask_b32_e64 v11, v13, v12, s[0:1]
	v_add_co_u32_e64 v12, s[0:1], 2, v4
	v_addc_co_u32_e64 v13, s[0:1], 0, v10, s[0:1]
	v_add_co_u32_e64 v14, s[0:1], 1, v4
	v_addc_co_u32_e64 v15, s[0:1], 0, v10, s[0:1]
	v_subb_co_u32_e32 v8, vcc, v6, v8, vcc
	v_cmp_ne_u32_e64 s[0:1], 0, v11
	v_cmp_le_u32_e32 vcc, s21, v8
	v_cndmask_b32_e64 v11, v15, v13, s[0:1]
	v_cndmask_b32_e64 v13, 0, -1, vcc
	v_cmp_le_u32_e32 vcc, s20, v7
	v_cndmask_b32_e64 v7, 0, -1, vcc
	v_cmp_eq_u32_e32 vcc, s21, v8
	v_cndmask_b32_e32 v7, v13, v7, vcc
	v_cmp_ne_u32_e32 vcc, 0, v7
	v_cndmask_b32_e64 v7, v14, v12, s[0:1]
	v_cndmask_b32_e32 v8, v10, v11, vcc
	v_cndmask_b32_e32 v7, v4, v7, vcc
.LBB0_4:                                ;   in Loop: Header=BB0_2 Depth=1
	s_andn2_saveexec_b64 s[0:1], s[22:23]
	s_cbranch_execz .LBB0_6
; %bb.5:                                ;   in Loop: Header=BB0_2 Depth=1
	v_cvt_f32_u32_e32 v4, s20
	s_sub_i32 s22, 0, s20
	v_rcp_iflag_f32_e32 v4, v4
	v_mul_f32_e32 v4, 0x4f7ffffe, v4
	v_cvt_u32_f32_e32 v4, v4
	v_mul_lo_u32 v7, s22, v4
	v_mul_hi_u32 v7, v4, v7
	v_add_u32_e32 v4, v4, v7
	v_mul_hi_u32 v4, v5, v4
	v_mul_lo_u32 v7, v4, s20
	v_add_u32_e32 v8, 1, v4
	v_sub_u32_e32 v7, v5, v7
	v_subrev_u32_e32 v10, s20, v7
	v_cmp_le_u32_e32 vcc, s20, v7
	v_cndmask_b32_e32 v7, v7, v10, vcc
	v_cndmask_b32_e32 v4, v4, v8, vcc
	v_add_u32_e32 v8, 1, v4
	v_cmp_le_u32_e32 vcc, s20, v7
	v_cndmask_b32_e32 v7, v4, v8, vcc
	v_mov_b32_e32 v8, v3
.LBB0_6:                                ;   in Loop: Header=BB0_2 Depth=1
	s_or_b64 exec, exec, s[0:1]
	v_mul_lo_u32 v4, v8, s20
	v_mul_lo_u32 v12, v7, s21
	v_mad_u64_u32 v[10:11], s[0:1], v7, s20, 0
	s_load_dwordx2 s[0:1], s[6:7], 0x0
	s_add_u32 s18, s18, 1
	v_add3_u32 v4, v11, v12, v4
	v_sub_co_u32_e32 v5, vcc, v5, v10
	v_subb_co_u32_e32 v4, vcc, v6, v4, vcc
	s_waitcnt lgkmcnt(0)
	v_mul_lo_u32 v4, s0, v4
	v_mul_lo_u32 v6, s1, v5
	v_mad_u64_u32 v[1:2], s[0:1], s0, v5, v[1:2]
	s_addc_u32 s19, s19, 0
	s_add_u32 s6, s6, 8
	v_add3_u32 v2, v6, v2, v4
	v_mov_b32_e32 v4, s10
	v_mov_b32_e32 v5, s11
	s_addc_u32 s7, s7, 0
	v_cmp_ge_u64_e32 vcc, s[18:19], v[4:5]
	s_add_u32 s16, s16, 8
	s_addc_u32 s17, s17, 0
	s_cbranch_vccnz .LBB0_9
; %bb.7:                                ;   in Loop: Header=BB0_2 Depth=1
	v_mov_b32_e32 v5, v7
	v_mov_b32_e32 v6, v8
	s_branch .LBB0_2
.LBB0_8:
	v_mov_b32_e32 v8, v6
	v_mov_b32_e32 v7, v5
.LBB0_9:
	s_lshl_b64 s[0:1], s[10:11], 3
	s_add_u32 s0, s2, s0
	s_addc_u32 s1, s3, s1
	s_load_dwordx2 s[2:3], s[0:1], 0x0
	s_load_dwordx2 s[6:7], s[4:5], 0x20
	v_and_b32_e32 v5, 1, v9
	v_mov_b32_e32 v6, 0x11e
	v_cmp_eq_u32_e32 vcc, 1, v5
	s_waitcnt lgkmcnt(0)
	v_mul_lo_u32 v3, s2, v8
	v_mul_lo_u32 v4, s3, v7
	v_mad_u64_u32 v[1:2], s[0:1], s2, v7, v[1:2]
	s_mov_b32 s0, 0x9d89d8a
	v_cndmask_b32_e32 v21, 0, v6, vcc
	v_add3_u32 v2, v4, v2, v3
	v_mul_hi_u32 v3, v0, s0
	v_cmp_gt_u64_e32 vcc, s[6:7], v[7:8]
	v_lshlrev_b32_e32 v22, 2, v21
	v_mul_u32_u24_e32 v3, 26, v3
	v_sub_u32_e32 v0, v0, v3
	v_lshlrev_b64 v[2:3], 2, v[1:2]
	v_lshlrev_b32_e32 v1, 2, v0
	v_add_u32_e32 v19, 26, v0
	v_add_u32_e32 v18, 52, v0
	s_and_saveexec_b64 s[2:3], vcc
	s_cbranch_execz .LBB0_11
; %bb.10:
	v_mad_u64_u32 v[4:5], s[0:1], s12, v0, 0
	v_mov_b32_e32 v8, s15
	v_add_u32_e32 v12, 0x4e, v0
	v_mad_u64_u32 v[5:6], s[0:1], s13, v0, v[5:6]
	v_mad_u64_u32 v[6:7], s[0:1], s12, v19, 0
	v_add_co_u32_e64 v33, s[0:1], s14, v2
	v_addc_co_u32_e64 v34, s[0:1], v8, v3, s[0:1]
	v_mad_u64_u32 v[7:8], s[0:1], s13, v19, v[7:8]
	v_mad_u64_u32 v[8:9], s[0:1], s12, v18, 0
	v_lshlrev_b64 v[4:5], 2, v[4:5]
	v_lshlrev_b64 v[6:7], 2, v[6:7]
	v_add_co_u32_e64 v4, s[0:1], v33, v4
	v_addc_co_u32_e64 v5, s[0:1], v34, v5, s[0:1]
	v_mad_u64_u32 v[9:10], s[0:1], s13, v18, v[9:10]
	v_mad_u64_u32 v[10:11], s[0:1], s12, v12, 0
	v_add_co_u32_e64 v6, s[0:1], v33, v6
	v_addc_co_u32_e64 v7, s[0:1], v34, v7, s[0:1]
	v_mad_u64_u32 v[11:12], s[0:1], s13, v12, v[11:12]
	v_add_u32_e32 v14, 0x68, v0
	v_mad_u64_u32 v[12:13], s[0:1], s12, v14, 0
	v_lshlrev_b64 v[8:9], 2, v[8:9]
	v_add_u32_e32 v16, 0x82, v0
	v_add_co_u32_e64 v8, s[0:1], v33, v8
	v_addc_co_u32_e64 v9, s[0:1], v34, v9, s[0:1]
	v_mad_u64_u32 v[13:14], s[0:1], s13, v14, v[13:14]
	v_mad_u64_u32 v[14:15], s[0:1], s12, v16, 0
	v_lshlrev_b64 v[10:11], 2, v[10:11]
	v_add_u32_e32 v20, 0x9c, v0
	v_add_co_u32_e64 v10, s[0:1], v33, v10
	v_addc_co_u32_e64 v11, s[0:1], v34, v11, s[0:1]
	v_mad_u64_u32 v[15:16], s[0:1], s13, v16, v[15:16]
	;; [unrolled: 6-line block ×3, first 2 shown]
	v_mad_u64_u32 v[24:25], s[0:1], s12, v26, 0
	v_lshlrev_b64 v[14:15], 2, v[14:15]
	v_add_u32_e32 v28, 0xd0, v0
	v_add_co_u32_e64 v14, s[0:1], v33, v14
	v_mov_b32_e32 v20, v25
	v_addc_co_u32_e64 v15, s[0:1], v34, v15, s[0:1]
	v_mad_u64_u32 v[25:26], s[0:1], s13, v26, v[20:21]
	v_mad_u64_u32 v[26:27], s[0:1], s12, v28, 0
	v_mov_b32_e32 v17, v23
	v_lshlrev_b64 v[16:17], 2, v[16:17]
	v_mov_b32_e32 v20, v27
	v_add_co_u32_e64 v16, s[0:1], v33, v16
	v_addc_co_u32_e64 v17, s[0:1], v34, v17, s[0:1]
	v_mad_u64_u32 v[27:28], s[0:1], s13, v28, v[20:21]
	v_add_u32_e32 v30, 0xea, v0
	v_mad_u64_u32 v[28:29], s[0:1], s12, v30, 0
	v_lshlrev_b64 v[23:24], 2, v[24:25]
	v_add_u32_e32 v32, 0x104, v0
	v_add_co_u32_e64 v23, s[0:1], v33, v23
	v_mov_b32_e32 v20, v29
	v_addc_co_u32_e64 v24, s[0:1], v34, v24, s[0:1]
	v_mad_u64_u32 v[29:30], s[0:1], s13, v30, v[20:21]
	v_mad_u64_u32 v[30:31], s[0:1], s12, v32, 0
	v_lshlrev_b64 v[25:26], 2, v[26:27]
	v_lshlrev_b64 v[27:28], 2, v[28:29]
	v_add_co_u32_e64 v25, s[0:1], v33, v25
	v_mov_b32_e32 v20, v31
	v_addc_co_u32_e64 v26, s[0:1], v34, v26, s[0:1]
	v_mad_u64_u32 v[31:32], s[0:1], s13, v32, v[20:21]
	v_add_co_u32_e64 v27, s[0:1], v33, v27
	v_lshlrev_b64 v[29:30], 2, v[30:31]
	v_addc_co_u32_e64 v28, s[0:1], v34, v28, s[0:1]
	v_add_co_u32_e64 v29, s[0:1], v33, v29
	v_addc_co_u32_e64 v30, s[0:1], v34, v30, s[0:1]
	global_load_dword v20, v[4:5], off
	global_load_dword v31, v[6:7], off
	;; [unrolled: 1-line block ×11, first 2 shown]
	v_add3_u32 v4, 0, v22, v1
	s_waitcnt vmcnt(9)
	ds_write2_b32 v4, v20, v31 offset1:26
	s_waitcnt vmcnt(7)
	ds_write2_b32 v4, v32, v33 offset0:52 offset1:78
	s_waitcnt vmcnt(5)
	ds_write2_b32 v4, v34, v35 offset0:104 offset1:130
	;; [unrolled: 2-line block ×4, first 2 shown]
	s_waitcnt vmcnt(0)
	ds_write_b32 v4, v40 offset:1040
.LBB0_11:
	s_or_b64 exec, exec, s[2:3]
	v_add_u32_e32 v24, 0, v1
	v_add_u32_e32 v23, v24, v22
	;; [unrolled: 1-line block ×3, first 2 shown]
	s_waitcnt lgkmcnt(0)
	; wave barrier
	s_waitcnt lgkmcnt(0)
	ds_read2_b32 v[6:7], v4 offset0:114 offset1:136
	ds_read2_b32 v[14:15], v23 offset0:22 offset1:44
	v_add3_u32 v20, 0, v22, v1
	ds_read2_b32 v[12:13], v23 offset0:66 offset1:88
	ds_read2_b32 v[8:9], v23 offset0:198 offset1:220
	ds_read_b32 v1, v20
	s_mov_b32 s20, 0xba95
	s_movk_i32 s5, 0x388b
	s_waitcnt lgkmcnt(3)
	v_pk_add_f16 v26, v14, v7 neg_lo:[0,1] neg_hi:[0,1]
	v_pk_add_f16 v28, v7, v14
	v_mul_f16_sdwa v44, v26, s20 dst_sel:DWORD dst_unused:UNUSED_PAD src0_sel:WORD_1 src1_sel:DWORD
	v_pk_add_f16 v27, v15, v6 neg_lo:[0,1] neg_hi:[0,1]
	s_mov_b32 s4, 0xbb7b
	v_lshrrev_b32_e32 v38, 16, v28
	v_mul_f16_e32 v47, 0xba95, v26
	v_fma_f16 v5, v28, s5, v44
	v_pk_add_f16 v30, v6, v15
	s_mov_b32 s6, 0xb5ac
	v_mul_f16_sdwa v45, v27, s4 dst_sel:DWORD dst_unused:UNUSED_PAD src0_sel:WORD_1 src1_sel:DWORD
	s_waitcnt lgkmcnt(0)
	v_add_f16_e32 v5, v1, v5
	v_fma_f16 v10, v38, s5, -v47
	v_lshrrev_b32_e32 v39, 16, v30
	v_mul_f16_e32 v49, 0xbb7b, v27
	v_fma_f16 v11, v30, s6, v45
	v_pk_add_f16 v29, v12, v9 neg_lo:[0,1] neg_hi:[0,1]
	s_mov_b32 s7, 0xb3a8
	v_add_f16_sdwa v10, v1, v10 dst_sel:DWORD dst_unused:UNUSED_PAD src0_sel:WORD_1 src1_sel:DWORD
	v_add_f16_e32 v5, v11, v5
	v_fma_f16 v11, v39, s6, -v49
	v_pk_add_f16 v31, v9, v12
	s_mov_b32 s10, 0xbbc4
	v_mul_f16_sdwa v46, v29, s7 dst_sel:DWORD dst_unused:UNUSED_PAD src0_sel:WORD_1 src1_sel:DWORD
	v_add_f16_e32 v10, v11, v10
	v_fma_f16 v11, v31, s10, v46
	v_lshrrev_b32_e32 v40, 16, v31
	v_mul_f16_e32 v51, 0xb3a8, v29
	s_movk_i32 s23, 0x394e
	v_pk_add_f16 v32, v13, v8 neg_lo:[0,1] neg_hi:[0,1]
	v_add_f16_e32 v5, v11, v5
	v_fma_f16 v11, v40, s10, -v51
	s_mov_b32 s11, 0xb9fd
	v_pk_add_f16 v33, v8, v13
	v_mul_f16_sdwa v48, v32, s23 dst_sel:DWORD dst_unused:UNUSED_PAD src0_sel:WORD_1 src1_sel:DWORD
	v_add_f16_e32 v25, v11, v10
	v_fma_f16 v10, v33, s11, v48
	v_add_f16_e32 v5, v10, v5
	ds_read2_b32 v[16:17], v23 offset0:110 offset1:132
	ds_read2_b32 v[10:11], v23 offset0:154 offset1:176
	v_lshrrev_b32_e32 v41, 16, v33
	v_mul_f16_e32 v52, 0x394e, v32
	v_fma_f16 v34, v41, s11, -v52
	v_add_f16_e32 v25, v34, v25
	s_movk_i32 s16, 0x3bf1
	s_waitcnt lgkmcnt(0)
	v_pk_add_f16 v34, v16, v11 neg_lo:[0,1] neg_hi:[0,1]
	s_movk_i32 s17, 0x2fb7
	v_pk_add_f16 v36, v11, v16
	v_mul_f16_sdwa v50, v34, s16 dst_sel:DWORD dst_unused:UNUSED_PAD src0_sel:WORD_1 src1_sel:DWORD
	v_fma_f16 v35, v36, s17, v50
	v_lshrrev_b32_e32 v42, 16, v36
	v_mul_f16_e32 v54, 0x3bf1, v34
	v_add_f16_e32 v5, v35, v5
	v_fma_f16 v35, v42, s17, -v54
	v_add_f16_e32 v25, v35, v25
	v_pk_add_f16 v37, v10, v17
	v_pk_add_f16 v35, v17, v10 neg_lo:[0,1] neg_hi:[0,1]
	s_movk_i32 s19, 0x3b15
	v_lshrrev_b32_e32 v43, 16, v37
	v_mul_f16_e32 v55, 0x3770, v35
	v_fma_f16 v53, v43, s19, -v55
	s_movk_i32 s18, 0x3770
	v_add_f16_e32 v25, v53, v25
	v_mul_f16_sdwa v53, v35, s18 dst_sel:DWORD dst_unused:UNUSED_PAD src0_sel:WORD_1 src1_sel:DWORD
	v_fma_f16 v56, v37, s19, v53
	v_add_f16_e32 v5, v56, v5
	v_cmp_gt_u32_e64 s[0:1], 22, v0
	s_waitcnt lgkmcnt(0)
	; wave barrier
	s_and_saveexec_b64 s[2:3], s[0:1]
	s_cbranch_execz .LBB0_13
; %bb.12:
	s_mov_b32 s22, 0xbbf1
	v_mul_f16_sdwa v56, v26, s22 dst_sel:DWORD dst_unused:UNUSED_PAD src0_sel:WORD_1 src1_sel:DWORD
	v_fma_f16 v57, v28, s17, v56
	v_mul_f16_sdwa v58, v27, s7 dst_sel:DWORD dst_unused:UNUSED_PAD src0_sel:WORD_1 src1_sel:DWORD
	v_add_f16_e32 v57, v1, v57
	v_fma_f16 v59, v30, s10, v58
	s_movk_i32 s1, 0x3b7b
	v_add_f16_e32 v57, v59, v57
	v_mul_f16_sdwa v59, v29, s1 dst_sel:DWORD dst_unused:UNUSED_PAD src0_sel:WORD_1 src1_sel:DWORD
	v_fma_f16 v60, v31, s6, v59
	v_add_f16_e32 v57, v60, v57
	v_mul_f16_sdwa v60, v32, s18 dst_sel:DWORD dst_unused:UNUSED_PAD src0_sel:WORD_1 src1_sel:DWORD
	v_fma_f16 v56, v28, s17, -v56
	v_fma_f16 v61, v33, s19, v60
	v_add_f16_e32 v56, v1, v56
	v_fma_f16 v58, v30, s10, -v58
	v_add_f16_e32 v57, v61, v57
	v_mul_f16_sdwa v61, v34, s20 dst_sel:DWORD dst_unused:UNUSED_PAD src0_sel:WORD_1 src1_sel:DWORD
	v_add_f16_e32 v56, v58, v56
	v_fma_f16 v58, v31, s6, -v59
	v_fma_f16 v62, v36, s5, v61
	s_mov_b32 s0, 0xb94e
	v_add_f16_e32 v56, v58, v56
	v_fma_f16 v58, v33, s19, -v60
	v_add_f16_e32 v57, v62, v57
	v_mul_f16_sdwa v62, v35, s0 dst_sel:DWORD dst_unused:UNUSED_PAD src0_sel:WORD_1 src1_sel:DWORD
	v_add_f16_e32 v56, v58, v56
	v_fma_f16 v58, v36, s5, -v61
	v_add_f16_e32 v56, v58, v56
	v_fma_f16 v58, v37, s11, -v62
	v_add_f16_e32 v56, v58, v56
	v_mul_f16_e32 v58, 0x388b, v38
	v_add_f16_e32 v47, v47, v58
	v_mul_f16_e32 v58, 0xb5ac, v39
	v_add_f16_e32 v49, v49, v58
	v_add_f16_sdwa v47, v1, v47 dst_sel:DWORD dst_unused:UNUSED_PAD src0_sel:WORD_1 src1_sel:DWORD
	v_add_f16_e32 v47, v49, v47
	v_mul_f16_e32 v49, 0xbbc4, v40
	v_add_f16_e32 v49, v51, v49
	v_add_f16_e32 v47, v49, v47
	v_mul_f16_e32 v49, 0xb9fd, v41
	v_add_f16_e32 v49, v52, v49
	;; [unrolled: 3-line block ×4, first 2 shown]
	v_add_f16_e32 v47, v49, v47
	v_mul_f16_e32 v49, 0x388b, v28
	v_sub_f16_e32 v44, v49, v44
	v_mul_f16_e32 v49, 0xb5ac, v30
	v_sub_f16_e32 v45, v49, v45
	v_add_f16_e32 v44, v1, v44
	v_add_f16_e32 v44, v45, v44
	v_mul_f16_e32 v45, 0xbbc4, v31
	v_sub_f16_e32 v45, v45, v46
	v_add_f16_e32 v44, v45, v44
	v_mul_f16_e32 v45, 0xb9fd, v33
	v_fma_f16 v63, v37, s11, v62
	v_sub_f16_e32 v45, v45, v48
	v_add_f16_e32 v57, v63, v57
	v_mul_f16_e32 v63, 0xb5ac, v38
	v_add_f16_e32 v44, v45, v44
	v_mul_f16_e32 v45, 0x2fb7, v36
	v_fma_f16 v64, v26, s1, v63
	v_mul_f16_e32 v65, 0xb9fd, v39
	v_sub_f16_e32 v45, v45, v50
	v_mul_f16_e32 v46, 0x3b15, v37
	v_add_f16_sdwa v64, v1, v64 dst_sel:DWORD dst_unused:UNUSED_PAD src0_sel:WORD_1 src1_sel:DWORD
	v_fma_f16 v66, v27, s0, v65
	v_add_f16_e32 v44, v45, v44
	v_sub_f16_e32 v45, v46, v53
	v_add_f16_e32 v64, v66, v64
	s_mov_b32 s21, 0xb770
	v_mul_f16_e32 v66, 0x3b15, v40
	v_add_f16_e32 v44, v45, v44
	v_mul_f16_e32 v45, 0xb770, v26
	v_pk_add_f16 v14, v1, v14
	v_fma_f16 v67, v29, s21, v66
	v_fma_f16 v46, v38, s19, v45
	v_pk_add_f16 v14, v14, v15
	v_mul_f16_e32 v15, 0xba95, v27
	v_add_f16_e32 v64, v67, v64
	v_mul_f16_e32 v67, 0x2fb7, v41
	v_add_f16_sdwa v46, v1, v46 dst_sel:DWORD dst_unused:UNUSED_PAD src0_sel:WORD_1 src1_sel:DWORD
	v_fma_f16 v48, v39, s5, v15
	v_fma_f16 v68, v32, s16, v67
	v_add_f16_e32 v46, v48, v46
	v_mul_f16_e32 v48, 0xbbf1, v29
	v_pk_add_f16 v12, v14, v12
	v_add_f16_e32 v64, v68, v64
	v_mul_f16_e32 v68, 0xbbc4, v42
	v_fma_f16 v49, v40, s17, v48
	v_pk_add_f16 v12, v12, v13
	v_mul_f16_e32 v13, 0xbb7b, v32
	v_fma_f16 v69, v34, s7, v68
	v_add_f16_e32 v46, v49, v46
	v_fma_f16 v14, v41, s6, v13
	v_add_f16_e32 v64, v69, v64
	v_mul_f16_e32 v69, 0x388b, v43
	v_add_f16_e32 v14, v14, v46
	v_mul_f16_e32 v46, 0xb94e, v34
	v_pk_add_f16 v12, v12, v16
	v_fma_f16 v70, v35, s20, v69
	v_fma_f16 v49, v42, s11, v46
	v_pk_add_f16 v12, v12, v17
	v_mul_f16_e32 v16, 0xb3a8, v35
	v_add_f16_e32 v64, v70, v64
	v_mul_f16_e32 v70, 0xb9fd, v38
	v_add_f16_e32 v14, v49, v14
	v_fma_f16 v17, v43, s10, v16
	v_pk_add_f16 v10, v12, v10
	v_fma_f16 v71, v26, s23, v70
	v_mul_f16_e32 v72, 0x2fb7, v39
	v_add_f16_e32 v14, v17, v14
	v_mul_f16_sdwa v17, v26, s21 dst_sel:DWORD dst_unused:UNUSED_PAD src0_sel:WORD_1 src1_sel:DWORD
	v_pk_add_f16 v10, v10, v11
	v_add_f16_sdwa v71, v1, v71 dst_sel:DWORD dst_unused:UNUSED_PAD src0_sel:WORD_1 src1_sel:DWORD
	v_fma_f16 v73, v27, s22, v72
	v_fma_f16 v11, v28, s19, -v17
	v_mul_f16_sdwa v12, v27, s20 dst_sel:DWORD dst_unused:UNUSED_PAD src0_sel:WORD_1 src1_sel:DWORD
	v_pk_add_f16 v8, v10, v8
	v_add_f16_e32 v71, v73, v71
	s_movk_i32 s1, 0x3a95
	v_mul_f16_e32 v73, 0x388b, v40
	v_add_f16_e32 v11, v1, v11
	v_fma_f16 v49, v30, s5, -v12
	v_pk_add_f16 v8, v8, v9
	v_mul_f16_sdwa v9, v29, s22 dst_sel:DWORD dst_unused:UNUSED_PAD src0_sel:WORD_1 src1_sel:DWORD
	v_fma_f16 v74, v29, s1, v73
	v_add_f16_e32 v11, v49, v11
	v_fma_f16 v10, v31, s17, -v9
	v_add_f16_e32 v71, v74, v71
	v_mul_f16_e32 v74, 0xbbc4, v41
	v_add_f16_e32 v10, v10, v11
	v_mul_f16_sdwa v11, v32, s4 dst_sel:DWORD dst_unused:UNUSED_PAD src0_sel:WORD_1 src1_sel:DWORD
	v_pk_add_f16 v6, v8, v6
	v_fma_f16 v75, v32, s7, v74
	v_fma_f16 v49, v33, s6, -v11
	v_pk_add_f16 v6, v6, v7
	v_mul_f16_sdwa v7, v34, s0 dst_sel:DWORD dst_unused:UNUSED_PAD src0_sel:WORD_1 src1_sel:DWORD
	v_add_f16_e32 v71, v75, v71
	v_mul_f16_sdwa v75, v26, s0 dst_sel:DWORD dst_unused:UNUSED_PAD src0_sel:WORD_1 src1_sel:DWORD
	v_fma_f16 v70, v26, s0, v70
	v_add_f16_e32 v10, v49, v10
	v_fma_f16 v8, v36, s11, -v7
	v_fma_f16 v76, v28, s11, v75
	v_mul_f16_sdwa v77, v27, s16 dst_sel:DWORD dst_unused:UNUSED_PAD src0_sel:WORD_1 src1_sel:DWORD
	v_add_f16_sdwa v70, v1, v70 dst_sel:DWORD dst_unused:UNUSED_PAD src0_sel:WORD_1 src1_sel:DWORD
	v_fma_f16 v72, v27, s16, v72
	v_fma_f16 v63, v26, s4, v63
	v_add_f16_e32 v8, v8, v10
	v_mul_f16_sdwa v10, v35, s7 dst_sel:DWORD dst_unused:UNUSED_PAD src0_sel:WORD_1 src1_sel:DWORD
	v_fma_f16 v17, v28, s19, v17
	v_add_f16_e32 v76, v1, v76
	v_fma_f16 v78, v30, s17, v77
	s_movk_i32 s24, 0x33a8
	v_add_f16_e32 v70, v72, v70
	v_fma_f16 v72, v29, s20, v73
	v_add_f16_sdwa v63, v1, v63 dst_sel:DWORD dst_unused:UNUSED_PAD src0_sel:WORD_1 src1_sel:DWORD
	v_fma_f16 v65, v27, s23, v65
	v_fma_f16 v49, v37, s10, -v10
	v_add_f16_e32 v17, v1, v17
	v_fma_f16 v12, v30, s5, v12
	v_add_f16_e32 v76, v78, v76
	v_mul_f16_sdwa v78, v29, s20 dst_sel:DWORD dst_unused:UNUSED_PAD src0_sel:WORD_1 src1_sel:DWORD
	v_add_f16_e32 v70, v72, v70
	v_fma_f16 v72, v32, s24, v74
	v_add_f16_e32 v63, v65, v63
	v_fma_f16 v65, v29, s18, v66
	v_add_f16_e32 v8, v49, v8
	s_mov_b32 s20, 0x2fb7b5ac
	v_fma_f16 v38, v38, s19, -v45
	v_add_f16_e32 v12, v12, v17
	v_fma_f16 v9, v31, s17, v9
	v_add_f16_e32 v70, v72, v70
	v_mul_f16_e32 v72, 0x3b15, v42
	v_add_f16_e32 v63, v65, v63
	v_fma_f16 v65, v32, s22, v67
	v_pk_mul_f16 v45, v28, s20
	s_mov_b32 s20, 0xbb7bbbf1
	v_fma_f16 v15, v39, s5, -v15
	s_mov_b32 s22, 0xbbc4b9fd
	v_add_f16_sdwa v38, v1, v38 dst_sel:DWORD dst_unused:UNUSED_PAD src0_sel:WORD_1 src1_sel:DWORD
	v_add_f16_e32 v9, v9, v12
	v_fma_f16 v11, v33, s6, v11
	v_pack_b32_f16 v8, v8, v14
	v_mul_u32_u24_e32 v14, 48, v0
	v_fma_f16 v79, v31, s5, v78
	v_fma_f16 v73, v34, s18, v72
	v_pk_fma_f16 v39, v26, s20, v45 op_sel:[0,0,1] op_sel_hi:[1,1,0] neg_lo:[1,0,0] neg_hi:[1,0,0]
	v_add_f16_e32 v15, v15, v38
	v_pk_mul_f16 v38, v30, s22
	s_mov_b32 s22, 0x394eb3a8
	v_fma_f16 v40, v40, s17, -v48
	s_mov_b32 s23, 0xb5ac3b15
	v_add_f16_e32 v9, v11, v9
	v_pk_fma_f16 v45, v26, s20, v45 op_sel:[0,0,1] op_sel_hi:[1,1,0]
	v_fma_f16 v7, v36, s11, v7
	v_add3_u32 v14, v24, v14, v22
	s_mov_b32 s20, 0xffff
	v_add_f16_e32 v76, v79, v76
	v_mul_f16_sdwa v79, v32, s24 dst_sel:DWORD dst_unused:UNUSED_PAD src0_sel:WORD_1 src1_sel:DWORD
	v_add_f16_e32 v70, v73, v70
	v_mul_f16_e32 v73, 0xb5ac, v43
	v_add_f16_e32 v63, v65, v63
	v_fma_f16 v65, v34, s24, v68
	v_pk_fma_f16 v48, v27, s22, v38 op_sel:[0,0,1] op_sel_hi:[1,1,0] neg_lo:[1,0,0] neg_hi:[1,0,0]
	v_add_f16_e32 v15, v40, v15
	v_pk_mul_f16 v40, v31, s23
	s_mov_b32 s23, 0x37703b7b
	v_fma_f16 v13, v41, s6, -v13
	s_mov_b32 s24, 0x3b152fb7
	v_add_f16_e32 v7, v7, v9
	v_pk_add_f16 v9, v1, v45 op_sel:[1,0] op_sel_hi:[0,1]
	v_pk_fma_f16 v38, v27, s22, v38 op_sel:[0,0,1] op_sel_hi:[1,1,0]
	ds_write2_b32 v14, v6, v8 offset1:1
	v_bfi_b32 v8, s20, v45, v39
	v_fma_f16 v74, v35, s4, v73
	v_pk_fma_f16 v41, v29, s23, v40 op_sel:[0,0,1] op_sel_hi:[1,1,0] neg_lo:[1,0,0] neg_hi:[1,0,0]
	v_add_f16_e32 v13, v13, v15
	v_pk_mul_f16 v15, v33, s24
	s_mov_b32 s24, 0xbbf13770
	v_fma_f16 v42, v42, s11, -v46
	s_mov_b32 s25, 0x388bbbc4
	v_add_f16_sdwa v11, v1, v39 dst_sel:DWORD dst_unused:UNUSED_PAD src0_sel:WORD_1 src1_sel:DWORD
	v_pk_add_f16 v9, v38, v9
	v_pk_fma_f16 v40, v29, s23, v40 op_sel:[0,0,1] op_sel_hi:[1,1,0]
	v_pk_add_f16 v8, v1, v8 op_sel:[1,0] op_sel_hi:[0,1]
	v_bfi_b32 v38, s20, v38, v48
	v_add_f16_e32 v70, v74, v70
	v_fma_f16 v74, v28, s11, -v75
	v_pk_fma_f16 v46, v32, s24, v15 op_sel:[0,0,1] op_sel_hi:[1,1,0] neg_lo:[1,0,0] neg_hi:[1,0,0]
	v_add_f16_e32 v13, v42, v13
	v_pk_mul_f16 v42, v36, s25
	s_mov_b32 s25, 0x33a8ba95
	v_add_f16_e32 v11, v48, v11
	v_pk_add_f16 v9, v40, v9
	v_pk_fma_f16 v15, v32, s24, v15 op_sel:[0,0,1] op_sel_hi:[1,1,0]
	v_pk_add_f16 v8, v38, v8
	v_bfi_b32 v38, s20, v40, v41
	v_fma_f16 v80, v33, s10, v79
	v_add_f16_e32 v74, v1, v74
	v_fma_f16 v75, v30, s17, -v77
	v_fma_f16 v16, v43, s10, -v16
	v_pk_fma_f16 v43, v34, s25, v42 op_sel:[0,0,1] op_sel_hi:[1,1,0] neg_lo:[1,0,0] neg_hi:[1,0,0]
	s_mov_b32 s26, 0xb9fd388b
	v_add_f16_e32 v11, v41, v11
	v_pk_add_f16 v9, v15, v9
	v_pk_fma_f16 v42, v34, s25, v42 op_sel:[0,0,1] op_sel_hi:[1,1,0]
	v_pk_add_f16 v8, v38, v8
	v_bfi_b32 v15, s20, v15, v46
	v_add_f16_e32 v76, v80, v76
	v_mul_f16_sdwa v80, v34, s18 dst_sel:DWORD dst_unused:UNUSED_PAD src0_sel:WORD_1 src1_sel:DWORD
	v_add_f16_e32 v74, v75, v74
	v_fma_f16 v75, v31, s5, -v78
	v_add_f16_e32 v13, v16, v13
	v_pk_mul_f16 v16, v37, s26
	s_mov_b32 s26, 0x3a95b94e
	v_add_f16_e32 v11, v46, v11
	v_pk_add_f16 v8, v15, v8
	v_bfi_b32 v15, s20, v42, v43
	v_fma_f16 v81, v36, s19, v80
	v_add_f16_e32 v74, v75, v74
	v_fma_f16 v75, v33, s10, -v79
	v_pk_fma_f16 v12, v35, s26, v16 op_sel:[0,0,1] op_sel_hi:[1,1,0] neg_lo:[1,0,0] neg_hi:[1,0,0]
	v_add_f16_e32 v11, v43, v11
	v_pk_add_f16 v8, v15, v8
	v_pk_fma_f16 v15, v35, s26, v16 op_sel:[0,0,1] op_sel_hi:[1,1,0]
	v_add_f16_e32 v76, v81, v76
	v_mul_f16_sdwa v81, v35, s4 dst_sel:DWORD dst_unused:UNUSED_PAD src0_sel:WORD_1 src1_sel:DWORD
	v_add_f16_e32 v74, v75, v74
	v_fma_f16 v75, v36, s19, -v80
	v_add_f16_e32 v63, v65, v63
	v_fma_f16 v65, v35, s1, v69
	v_add_f16_e32 v11, v12, v11
	v_bfi_b32 v12, s20, v15, v12
	v_add_f16_e32 v74, v75, v74
	v_fma_f16 v75, v37, s6, -v81
	v_add_f16_e32 v63, v65, v63
	v_pk_add_f16 v8, v12, v8
	v_add_f16_e32 v74, v75, v74
	v_alignbit_b32 v12, v63, v8, 16
	v_pack_b32_f16 v8, v56, v8
	v_pack_b32_f16 v6, v44, v47
	ds_write2_b32 v14, v8, v12 offset0:3 offset1:4
	v_pack_b32_f16 v8, v74, v70
	ds_write2_b32 v14, v6, v8 offset0:2 offset1:5
	v_pk_mul_f16 v6, v28, s10 op_sel_hi:[1,0]
	v_pk_fma_f16 v8, v26, s7, v6 op_sel:[0,0,1] op_sel_hi:[1,0,0] neg_lo:[1,0,0] neg_hi:[1,0,0]
	v_pk_mul_f16 v12, v30, s19 op_sel_hi:[1,0]
	v_pk_add_f16 v8, v1, v8 op_sel:[1,0] op_sel_hi:[0,1]
	v_pk_fma_f16 v15, v27, s18, v12 op_sel:[0,0,1] op_sel_hi:[1,0,0] neg_lo:[1,0,0] neg_hi:[1,0,0]
	v_pk_add_f16 v8, v15, v8
	v_pk_mul_f16 v15, v31, s11 op_sel_hi:[1,0]
	v_pk_fma_f16 v28, v29, s0, v15 op_sel:[0,0,1] op_sel_hi:[1,0,0] neg_lo:[1,0,0] neg_hi:[1,0,0]
	v_pk_add_f16 v8, v28, v8
	v_pk_mul_f16 v28, v33, s5 op_sel_hi:[1,0]
	v_pk_fma_f16 v6, v26, s7, v6 op_sel:[0,0,1] op_sel_hi:[1,0,0]
	v_pk_fma_f16 v30, v32, s1, v28 op_sel:[0,0,1] op_sel_hi:[1,0,0] neg_lo:[1,0,0] neg_hi:[1,0,0]
	v_pk_add_f16 v1, v1, v6 op_sel:[1,0] op_sel_hi:[0,1]
	v_pk_fma_f16 v6, v27, s18, v12 op_sel:[0,0,1] op_sel_hi:[1,0,0]
	v_pk_add_f16 v8, v30, v8
	v_pk_mul_f16 v30, v36, s6 op_sel_hi:[1,0]
	v_pk_add_f16 v1, v6, v1
	v_pk_fma_f16 v6, v29, s0, v15 op_sel:[0,0,1] op_sel_hi:[1,0,0]
	v_pk_fma_f16 v31, v34, s4, v30 op_sel:[0,0,1] op_sel_hi:[1,0,0] neg_lo:[1,0,0] neg_hi:[1,0,0]
	v_pk_add_f16 v1, v6, v1
	v_pk_fma_f16 v6, v32, s1, v28 op_sel:[0,0,1] op_sel_hi:[1,0,0]
	v_pk_add_f16 v8, v31, v8
	v_pk_mul_f16 v31, v37, s17 op_sel_hi:[1,0]
	v_pk_add_f16 v1, v6, v1
	v_pk_fma_f16 v6, v34, s4, v30 op_sel:[0,0,1] op_sel_hi:[1,0,0]
	v_pk_fma_f16 v33, v35, s16, v31 op_sel:[0,0,1] op_sel_hi:[1,0,0] neg_lo:[1,0,0] neg_hi:[1,0,0]
	v_pk_add_f16 v1, v6, v1
	v_pk_fma_f16 v6, v35, s16, v31 op_sel:[0,0,1] op_sel_hi:[1,0,0]
	v_pk_add_f16 v8, v33, v8
	v_pk_add_f16 v1, v6, v1
	v_pk_mul_f16 v17, v35, s26
	v_fma_f16 v49, v34, s21, v72
	v_fma_f16 v10, v37, s10, v10
	v_alignbit_b32 v6, v8, v1, 16
	v_alignbit_b32 v1, v1, v8, 16
	v_add_f16_e32 v7, v10, v7
	v_mul_f16_e32 v10, 0xbb7b, v35
	ds_write2_b32 v14, v1, v6 offset0:6 offset1:7
	v_pack_b32_f16 v1, v49, v16
	v_bfi_b32 v6, s20, v71, v17
	v_pk_add_f16 v1, v1, v6
	v_bfi_b32 v6, s20, v10, v9
	v_pk_add_f16 v6, v73, v6 neg_lo:[0,1] neg_hi:[0,1]
	v_pk_add_f16 v8, v42, v9
	v_fma_f16 v82, v37, s6, v81
	v_bfi_b32 v6, s20, v6, v8
	v_add_f16_e32 v76, v82, v76
	v_pk_add_f16 v1, v6, v1
	v_alignbit_b32 v6, v64, v1, 16
	v_pack_b32_f16 v1, v76, v1
	s_mov_b32 s0, 0x5040100
	ds_write2_b32 v14, v1, v6 offset0:8 offset1:9
	v_pack_b32_f16 v1, v57, v11
	v_perm_b32 v6, v25, v5, s0
	ds_write2_b32 v14, v1, v6 offset0:10 offset1:11
	v_pack_b32_f16 v1, v7, v13
	ds_write_b32 v14, v1 offset:48
.LBB0_13:
	s_or_b64 exec, exec, s[2:3]
	v_add_u32_e32 v6, -13, v0
	v_cmp_gt_u32_e64 s[0:1], 13, v0
	v_cndmask_b32_e64 v17, v6, v0, s[0:1]
	v_mov_b32_e32 v1, 0
	v_mul_i32_i24_e32 v7, 10, v17
	v_mov_b32_e32 v8, v1
	v_lshlrev_b64 v[7:8], 2, v[7:8]
	v_mov_b32_e32 v9, s9
	v_add_co_u32_e64 v15, s[2:3], s8, v7
	v_addc_co_u32_e64 v16, s[2:3], v9, v8, s[2:3]
	s_waitcnt lgkmcnt(0)
	; wave barrier
	s_waitcnt lgkmcnt(0)
	global_load_dwordx4 v[7:10], v[15:16], off
	global_load_dwordx4 v[11:14], v[15:16], off offset:16
	global_load_dwordx2 v[26:27], v[15:16], off offset:32
	ds_read2_b32 v[15:16], v23 offset0:26 offset1:52
	ds_read2_b32 v[28:29], v23 offset0:78 offset1:104
	;; [unrolled: 1-line block ×5, first 2 shown]
	ds_read_b32 v4, v20
	ds_read_u16 v36, v23 offset:522
	s_waitcnt lgkmcnt(6)
	v_lshrrev_b32_e32 v42, 16, v15
	s_waitcnt lgkmcnt(4)
	v_lshrrev_b32_e32 v37, 16, v31
	v_lshrrev_b32_e32 v43, 16, v16
	;; [unrolled: 1-line block ×4, first 2 shown]
	s_waitcnt lgkmcnt(3)
	v_lshrrev_b32_e32 v38, 16, v32
	v_lshrrev_b32_e32 v39, 16, v33
	s_waitcnt lgkmcnt(2)
	v_lshrrev_b32_e32 v40, 16, v34
	v_lshrrev_b32_e32 v41, 16, v35
	s_movk_i32 s4, 0x3abb
	s_movk_i32 s2, 0x36a6
	s_mov_b32 s3, 0xb08e
	s_mov_b32 s5, 0xb93d
	;; [unrolled: 1-line block ×3, first 2 shown]
	s_waitcnt lgkmcnt(0)
	; wave barrier
	s_waitcnt vmcnt(2) lgkmcnt(0)
	v_mul_f16_sdwa v46, v7, v42 dst_sel:DWORD dst_unused:UNUSED_PAD src0_sel:WORD_1 src1_sel:DWORD
	v_mul_f16_sdwa v47, v7, v15 dst_sel:DWORD dst_unused:UNUSED_PAD src0_sel:WORD_1 src1_sel:DWORD
	;; [unrolled: 1-line block ×4, first 2 shown]
	s_waitcnt vmcnt(1)
	v_mul_f16_sdwa v56, v37, v12 dst_sel:DWORD dst_unused:UNUSED_PAD src0_sel:DWORD src1_sel:WORD_1
	v_mul_f16_sdwa v57, v31, v12 dst_sel:DWORD dst_unused:UNUSED_PAD src0_sel:DWORD src1_sel:WORD_1
	v_fma_f16 v15, v7, v15, -v46
	v_fma_f16 v7, v7, v42, v47
	v_mul_f16_sdwa v50, v9, v44 dst_sel:DWORD dst_unused:UNUSED_PAD src0_sel:WORD_1 src1_sel:DWORD
	v_mul_f16_sdwa v51, v9, v28 dst_sel:DWORD dst_unused:UNUSED_PAD src0_sel:WORD_1 src1_sel:DWORD
	v_mul_f16_sdwa v54, v36, v11 dst_sel:DWORD dst_unused:UNUSED_PAD src0_sel:DWORD src1_sel:WORD_1
	v_mul_f16_sdwa v55, v11, v30 dst_sel:DWORD dst_unused:UNUSED_PAD src0_sel:WORD_1 src1_sel:DWORD
	v_fma_f16 v16, v8, v16, -v48
	v_fma_f16 v8, v8, v43, v49
	v_fma_f16 v31, v31, v12, -v56
	v_fma_f16 v12, v37, v12, v57
	v_add_f16_sdwa v37, v7, v4 dst_sel:DWORD dst_unused:UNUSED_PAD src0_sel:DWORD src1_sel:WORD_1
	v_mul_f16_sdwa v52, v10, v45 dst_sel:DWORD dst_unused:UNUSED_PAD src0_sel:WORD_1 src1_sel:DWORD
	v_mul_f16_sdwa v53, v10, v29 dst_sel:DWORD dst_unused:UNUSED_PAD src0_sel:WORD_1 src1_sel:DWORD
	v_fma_f16 v28, v9, v28, -v50
	v_fma_f16 v9, v9, v44, v51
	v_fma_f16 v30, v11, v30, -v54
	v_fma_f16 v11, v36, v11, v55
	v_add_f16_e32 v36, v15, v4
	v_add_f16_e32 v37, v37, v8
	v_fma_f16 v29, v10, v29, -v52
	v_fma_f16 v10, v10, v45, v53
	v_add_f16_e32 v36, v36, v16
	v_add_f16_e32 v37, v37, v9
	;; [unrolled: 1-line block ×4, first 2 shown]
	v_mul_f16_sdwa v58, v38, v13 dst_sel:DWORD dst_unused:UNUSED_PAD src0_sel:DWORD src1_sel:WORD_1
	v_mul_f16_sdwa v59, v32, v13 dst_sel:DWORD dst_unused:UNUSED_PAD src0_sel:DWORD src1_sel:WORD_1
	v_add_f16_e32 v36, v36, v29
	v_add_f16_e32 v37, v37, v11
	v_mul_f16_sdwa v60, v39, v14 dst_sel:DWORD dst_unused:UNUSED_PAD src0_sel:DWORD src1_sel:WORD_1
	v_mul_f16_sdwa v61, v33, v14 dst_sel:DWORD dst_unused:UNUSED_PAD src0_sel:DWORD src1_sel:WORD_1
	v_fma_f16 v32, v32, v13, -v58
	v_fma_f16 v13, v38, v13, v59
	v_add_f16_e32 v36, v36, v30
	v_add_f16_e32 v37, v37, v12
	s_waitcnt vmcnt(0)
	v_mul_f16_sdwa v62, v40, v26 dst_sel:DWORD dst_unused:UNUSED_PAD src0_sel:DWORD src1_sel:WORD_1
	v_mul_f16_sdwa v63, v34, v26 dst_sel:DWORD dst_unused:UNUSED_PAD src0_sel:DWORD src1_sel:WORD_1
	;; [unrolled: 1-line block ×4, first 2 shown]
	v_fma_f16 v33, v33, v14, -v60
	v_fma_f16 v14, v39, v14, v61
	v_add_f16_e32 v36, v36, v31
	v_add_f16_e32 v37, v37, v13
	v_fma_f16 v34, v34, v26, -v62
	v_fma_f16 v26, v40, v26, v63
	v_fma_f16 v35, v35, v27, -v64
	v_fma_f16 v27, v41, v27, v65
	v_add_f16_e32 v36, v36, v32
	v_add_f16_e32 v37, v37, v14
	;; [unrolled: 1-line block ×4, first 2 shown]
	v_sub_f16_e32 v15, v15, v35
	v_sub_f16_e32 v7, v7, v27
	v_add_f16_e32 v36, v36, v33
	v_add_f16_e32 v37, v37, v26
	v_mul_f16_e32 v40, 0xb853, v7
	v_add_f16_e32 v36, v36, v34
	v_add_f16_e32 v27, v37, v27
	v_mul_f16_e32 v37, 0xb853, v15
	v_mul_f16_e32 v42, 0xbb47, v7
	;; [unrolled: 1-line block ×9, first 2 shown]
	v_add_f16_e32 v35, v36, v35
	v_fma_f16 v36, v38, s4, -v40
	v_fma_f16 v41, v39, s4, v37
	v_fma_f16 v40, v38, s4, v40
	v_fma_f16 v37, v39, s4, -v37
	v_fma_f16 v43, v38, s2, -v42
	v_fma_f16 v45, v39, s2, v44
	v_fma_f16 v42, v38, s2, v42
	v_fma_f16 v44, v39, s2, -v44
	;; [unrolled: 4-line block ×5, first 2 shown]
	v_add_f16_e32 v38, v8, v26
	v_sub_f16_e32 v8, v8, v26
	v_add_f16_e32 v36, v36, v4
	v_add_f16_sdwa v41, v41, v4 dst_sel:DWORD dst_unused:UNUSED_PAD src0_sel:DWORD src1_sel:WORD_1
	v_add_f16_e32 v40, v40, v4
	v_add_f16_sdwa v37, v37, v4 dst_sel:DWORD dst_unused:UNUSED_PAD src0_sel:DWORD src1_sel:WORD_1
	;; [unrolled: 2-line block ×10, first 2 shown]
	v_add_f16_e32 v15, v16, v34
	v_mul_f16_e32 v26, 0xbb47, v8
	v_sub_f16_e32 v16, v16, v34
	v_fma_f16 v34, v15, s2, -v26
	v_add_f16_e32 v34, v34, v36
	v_mul_f16_e32 v36, 0xbb47, v16
	v_fma_f16 v39, v38, s2, v36
	v_fma_f16 v36, v38, s2, -v36
	v_fma_f16 v26, v15, s2, v26
	v_add_f16_e32 v36, v36, v37
	v_mul_f16_e32 v37, 0xba0c, v8
	v_add_f16_e32 v39, v39, v41
	v_add_f16_e32 v26, v26, v40
	v_fma_f16 v40, v15, s5, -v37
	v_mul_f16_e32 v41, 0xba0c, v16
	v_fma_f16 v37, v15, s5, v37
	v_add_f16_e32 v40, v40, v43
	v_fma_f16 v43, v38, s5, v41
	v_add_f16_e32 v37, v37, v42
	v_fma_f16 v41, v38, s5, -v41
	v_mul_f16_e32 v42, 0x3482, v8
	v_add_f16_e32 v43, v43, v45
	v_add_f16_e32 v41, v41, v44
	v_fma_f16 v44, v15, s6, -v42
	v_mul_f16_e32 v45, 0x3482, v16
	v_fma_f16 v42, v15, s6, v42
	v_add_f16_e32 v44, v44, v47
	v_fma_f16 v47, v38, s6, v45
	v_add_f16_e32 v42, v42, v46
	v_fma_f16 v45, v38, s6, -v45
	v_mul_f16_e32 v46, 0x3beb, v8
	v_add_f16_e32 v45, v45, v48
	v_fma_f16 v48, v15, s3, -v46
	v_fma_f16 v46, v15, s3, v46
	v_mul_f16_e32 v8, 0x3853, v8
	v_add_f16_e32 v47, v47, v49
	v_mul_f16_e32 v49, 0x3beb, v16
	v_add_f16_e32 v46, v46, v50
	v_fma_f16 v50, v15, s4, -v8
	v_mul_f16_e32 v16, 0x3853, v16
	v_fma_f16 v8, v15, s4, v8
	v_add_f16_e32 v48, v48, v51
	v_fma_f16 v51, v38, s3, v49
	v_fma_f16 v49, v38, s3, -v49
	v_add_f16_e32 v7, v8, v7
	v_fma_f16 v8, v38, s4, -v16
	v_add_f16_e32 v15, v9, v14
	v_sub_f16_e32 v9, v9, v14
	v_add_f16_e32 v49, v49, v52
	v_fma_f16 v52, v38, s4, v16
	v_add_f16_e32 v4, v8, v4
	v_add_f16_e32 v8, v28, v33
	v_sub_f16_e32 v16, v28, v33
	v_mul_f16_e32 v14, 0xbbeb, v9
	v_fma_f16 v28, v8, s3, -v14
	v_mul_f16_e32 v33, 0xbbeb, v16
	v_fma_f16 v14, v8, s3, v14
	v_add_f16_e32 v28, v28, v34
	v_fma_f16 v34, v15, s3, v33
	v_add_f16_e32 v14, v14, v26
	v_fma_f16 v26, v15, s3, -v33
	v_mul_f16_e32 v33, 0x3482, v9
	v_add_f16_e32 v26, v26, v36
	v_fma_f16 v36, v8, s6, -v33
	v_mul_f16_e32 v38, 0x3482, v16
	v_fma_f16 v33, v8, s6, v33
	v_add_f16_e32 v34, v34, v39
	v_fma_f16 v39, v15, s6, v38
	v_add_f16_e32 v33, v33, v37
	v_fma_f16 v37, v15, s6, -v38
	v_mul_f16_e32 v38, 0x3b47, v9
	v_add_f16_e32 v36, v36, v40
	v_fma_f16 v40, v8, s2, -v38
	v_fma_f16 v38, v8, s2, v38
	v_add_f16_e32 v37, v37, v41
	v_mul_f16_e32 v41, 0x3b47, v16
	v_add_f16_e32 v38, v38, v42
	v_mul_f16_e32 v42, 0xb853, v9
	v_add_f16_e32 v39, v39, v43
	v_add_f16_e32 v40, v40, v44
	v_fma_f16 v43, v15, s2, v41
	v_fma_f16 v41, v15, s2, -v41
	v_fma_f16 v44, v8, s4, -v42
	v_fma_f16 v42, v8, s4, v42
	v_mul_f16_e32 v9, 0xba0c, v9
	v_add_f16_e32 v41, v41, v45
	v_mul_f16_e32 v45, 0xb853, v16
	v_add_f16_e32 v42, v42, v46
	v_fma_f16 v46, v8, s5, -v9
	v_mul_f16_e32 v16, 0xba0c, v16
	v_fma_f16 v8, v8, s5, v9
	v_add_f16_e32 v7, v8, v7
	v_fma_f16 v8, v15, s5, -v16
	v_add_f16_e32 v9, v10, v13
	v_sub_f16_e32 v10, v10, v13
	v_add_f16_e32 v4, v8, v4
	v_add_f16_e32 v8, v29, v32
	v_mul_f16_e32 v13, 0xba0c, v10
	v_add_f16_e32 v43, v43, v47
	v_add_f16_e32 v44, v44, v48
	v_fma_f16 v47, v15, s4, v45
	v_fma_f16 v45, v15, s4, -v45
	v_fma_f16 v48, v15, s5, v16
	v_sub_f16_e32 v15, v29, v32
	v_fma_f16 v16, v8, s5, -v13
	v_add_f16_e32 v16, v16, v28
	v_mul_f16_e32 v28, 0xba0c, v15
	v_fma_f16 v13, v8, s5, v13
	v_add_f16_e32 v13, v13, v14
	v_fma_f16 v14, v9, s5, -v28
	v_add_f16_e32 v14, v14, v26
	v_mul_f16_e32 v26, 0x3beb, v10
	v_fma_f16 v29, v9, s5, v28
	v_fma_f16 v28, v8, s3, -v26
	v_fma_f16 v26, v8, s3, v26
	v_mul_f16_e32 v32, 0x3beb, v15
	v_add_f16_e32 v26, v26, v33
	v_mul_f16_e32 v33, 0xb853, v10
	v_add_f16_e32 v29, v29, v34
	v_add_f16_e32 v28, v28, v36
	v_fma_f16 v34, v9, s3, v32
	v_fma_f16 v32, v9, s3, -v32
	v_fma_f16 v36, v8, s4, -v33
	v_fma_f16 v33, v8, s4, v33
	v_add_f16_e32 v32, v32, v37
	v_mul_f16_e32 v37, 0xb853, v15
	v_add_f16_e32 v33, v33, v38
	v_mul_f16_e32 v38, 0xb482, v10
	v_add_f16_e32 v34, v34, v39
	v_add_f16_e32 v36, v36, v40
	v_fma_f16 v39, v9, s4, v37
	v_fma_f16 v37, v9, s4, -v37
	v_fma_f16 v40, v8, s6, -v38
	v_fma_f16 v38, v8, s6, v38
	v_mul_f16_e32 v10, 0x3b47, v10
	v_add_f16_e32 v37, v37, v41
	v_mul_f16_e32 v41, 0xb482, v15
	v_add_f16_e32 v38, v38, v42
	v_fma_f16 v42, v8, s2, -v10
	v_mul_f16_e32 v15, 0x3b47, v15
	v_fma_f16 v8, v8, s2, v10
	v_add_f16_e32 v7, v8, v7
	v_fma_f16 v8, v9, s2, -v15
	v_add_f16_e32 v10, v11, v12
	v_sub_f16_e32 v11, v11, v12
	v_add_f16_e32 v39, v39, v43
	v_add_f16_e32 v40, v40, v44
	v_fma_f16 v43, v9, s6, v41
	v_fma_f16 v41, v9, s6, -v41
	v_fma_f16 v44, v9, s2, v15
	v_add_f16_e32 v8, v8, v4
	v_add_f16_e32 v9, v30, v31
	v_mul_f16_e32 v4, 0xb482, v11
	v_sub_f16_e32 v15, v30, v31
	v_fma_f16 v12, v9, s6, -v4
	v_add_f16_e32 v12, v12, v16
	v_mul_f16_e32 v16, 0xb482, v15
	v_fma_f16 v4, v9, s6, v4
	v_add_f16_e32 v4, v4, v13
	v_fma_f16 v13, v10, s6, -v16
	v_fma_f16 v30, v10, s6, v16
	v_add_f16_e32 v16, v13, v14
	v_mul_f16_e32 v13, 0x3853, v11
	v_fma_f16 v14, v9, s4, -v13
	v_add_f16_e32 v14, v14, v28
	v_mul_f16_e32 v28, 0x3853, v15
	v_fma_f16 v13, v9, s4, v13
	v_add_f16_e32 v29, v30, v29
	v_fma_f16 v30, v10, s4, v28
	v_add_f16_e32 v13, v13, v26
	v_fma_f16 v26, v10, s4, -v28
	v_mul_f16_e32 v28, 0xba0c, v11
	v_fma_f16 v31, v9, s5, -v28
	v_fma_f16 v28, v9, s5, v28
	v_add_f16_e32 v26, v26, v32
	v_mul_f16_e32 v32, 0xba0c, v15
	v_add_f16_e32 v28, v28, v33
	v_mul_f16_e32 v33, 0x3b47, v11
	v_add_f16_e32 v30, v30, v34
	v_add_f16_e32 v31, v31, v36
	v_fma_f16 v34, v10, s5, v32
	v_fma_f16 v32, v10, s5, -v32
	v_fma_f16 v36, v9, s2, -v33
	v_fma_f16 v33, v9, s2, v33
	v_mul_f16_e32 v11, 0xbbeb, v11
	v_add_f16_e32 v32, v32, v37
	v_mul_f16_e32 v37, 0x3b47, v15
	v_add_f16_e32 v33, v33, v38
	v_fma_f16 v38, v9, s3, -v11
	v_mul_f16_e32 v15, 0xbbeb, v15
	v_fma_f16 v9, v9, s3, v11
	v_add_f16_e32 v7, v9, v7
	v_fma_f16 v9, v10, s3, -v15
	v_add_f16_e32 v45, v45, v49
	v_add_f16_e32 v34, v34, v39
	;; [unrolled: 1-line block ×3, first 2 shown]
	v_fma_f16 v39, v10, s2, v37
	v_fma_f16 v37, v10, s2, -v37
	v_fma_f16 v40, v10, s3, v15
	v_add_f16_e32 v8, v9, v8
	v_mov_b32_e32 v9, 0x23c
	v_cmp_lt_u32_e64 s[2:3], 12, v0
	v_add_f16_e32 v51, v51, v53
	v_add_f16_e32 v50, v50, v54
	v_add_f16_e32 v52, v52, v55
	v_add_f16_e32 v41, v41, v45
	v_cndmask_b32_e64 v9, 0, v9, s[2:3]
	v_add_f16_e32 v47, v47, v51
	v_add_f16_e32 v46, v46, v50
	;; [unrolled: 1-line block ×4, first 2 shown]
	v_add_u32_e32 v9, 0, v9
	v_lshlrev_b32_e32 v10, 2, v17
	v_add_f16_e32 v43, v43, v47
	v_add_f16_e32 v42, v42, v46
	;; [unrolled: 1-line block ×3, first 2 shown]
	v_add3_u32 v9, v9, v10, v22
	v_pack_b32_f16 v10, v35, v27
	v_pack_b32_f16 v11, v12, v29
	;; [unrolled: 1-line block ×4, first 2 shown]
	v_add_f16_e32 v39, v39, v43
	v_add_f16_e32 v38, v38, v42
	;; [unrolled: 1-line block ×3, first 2 shown]
	ds_write2_b32 v9, v10, v11 offset1:13
	v_pack_b32_f16 v10, v14, v30
	v_pack_b32_f16 v11, v31, v34
	ds_write2_b32 v9, v7, v8 offset0:78 offset1:91
	v_pack_b32_f16 v7, v28, v32
	v_pack_b32_f16 v8, v13, v26
	ds_write2_b32 v9, v10, v11 offset0:26 offset1:39
	;; [unrolled: 3-line block ×3, first 2 shown]
	v_pack_b32_f16 v7, v4, v16
	ds_write2_b32 v9, v10, v11 offset0:52 offset1:65
	ds_write_b32 v9, v7 offset:520
	s_waitcnt lgkmcnt(0)
	; wave barrier
	s_waitcnt lgkmcnt(0)
	ds_read2_b32 v[13:14], v23 offset0:143 offset1:169
	ds_read2_b32 v[7:8], v23 offset0:26 offset1:52
	;; [unrolled: 1-line block ×4, first 2 shown]
	ds_read_b32 v17, v20
	ds_read_b32 v22, v23 offset:988
	v_add_u32_e32 v15, 0x82, v0
	s_and_saveexec_b64 s[2:3], s[0:1]
	s_cbranch_execz .LBB0_15
; %bb.14:
	v_add_u32_e32 v4, 0x200, v23
	ds_read2_b32 v[4:5], v4 offset0:2 offset1:145
	v_mov_b32_e32 v6, v15
	s_waitcnt lgkmcnt(0)
	v_lshrrev_b32_e32 v16, 16, v4
	v_lshrrev_b32_e32 v25, 16, v5
.LBB0_15:
	s_or_b64 exec, exec, s[2:3]
	v_lshlrev_b64 v[26:27], 2, v[0:1]
	v_mov_b32_e32 v1, s9
	v_add_co_u32_e64 v26, s[2:3], s8, v26
	v_addc_co_u32_e64 v27, s[2:3], v1, v27, s[2:3]
	global_load_dword v1, v[26:27], off offset:520
	global_load_dword v28, v[26:27], off offset:624
	global_load_dword v29, v[26:27], off offset:728
	global_load_dword v30, v[26:27], off offset:832
	global_load_dword v31, v[26:27], off offset:936
	v_lshl_add_u32 v21, v21, 2, v24
	s_mov_b32 s2, 0xffff
	s_waitcnt lgkmcnt(0)
	; wave barrier
	s_waitcnt vmcnt(4) lgkmcnt(0)
	v_pk_mul_f16 v24, v1, v13 op_sel:[0,1]
	s_waitcnt vmcnt(3)
	v_pk_mul_f16 v26, v28, v14 op_sel:[0,1]
	s_waitcnt vmcnt(2)
	;; [unrolled: 2-line block ×4, first 2 shown]
	v_pk_mul_f16 v33, v31, v22 op_sel:[0,1]
	v_pk_fma_f16 v34, v1, v13, v24 op_sel:[0,0,1] op_sel_hi:[1,1,0] neg_lo:[0,0,1] neg_hi:[0,0,1]
	v_pk_fma_f16 v1, v1, v13, v24 op_sel:[0,0,1] op_sel_hi:[1,0,0]
	v_pk_fma_f16 v13, v28, v14, v26 op_sel:[0,0,1] op_sel_hi:[1,1,0] neg_lo:[0,0,1] neg_hi:[0,0,1]
	v_pk_fma_f16 v14, v28, v14, v26 op_sel:[0,0,1] op_sel_hi:[1,0,0]
	;; [unrolled: 2-line block ×5, first 2 shown]
	v_bfi_b32 v1, s2, v34, v1
	v_bfi_b32 v13, s2, v13, v14
	v_bfi_b32 v11, s2, v24, v11
	v_bfi_b32 v12, s2, v26, v12
	v_bfi_b32 v14, s2, v27, v22
	v_pk_add_f16 v1, v17, v1 neg_lo:[0,1] neg_hi:[0,1]
	v_pk_add_f16 v13, v7, v13 neg_lo:[0,1] neg_hi:[0,1]
	;; [unrolled: 1-line block ×5, first 2 shown]
	v_pk_fma_f16 v17, v17, 2.0, v1 op_sel_hi:[1,0,1] neg_lo:[0,0,1] neg_hi:[0,0,1]
	v_pk_fma_f16 v7, v7, 2.0, v13 op_sel_hi:[1,0,1] neg_lo:[0,0,1] neg_hi:[0,0,1]
	;; [unrolled: 1-line block ×5, first 2 shown]
	ds_write2_b32 v21, v13, v11 offset0:169 offset1:195
	ds_write2_b32 v23, v17, v7 offset1:26
	ds_write2_b32 v23, v8, v9 offset0:52 offset1:78
	ds_write2_b32 v23, v10, v1 offset0:104 offset1:143
	;; [unrolled: 1-line block ×3, first 2 shown]
	s_and_saveexec_b64 s[2:3], s[0:1]
	s_cbranch_execz .LBB0_17
; %bb.16:
	v_mov_b32_e32 v7, 0
	v_lshlrev_b64 v[6:7], 2, v[6:7]
	v_mov_b32_e32 v1, s9
	v_add_co_u32_e64 v6, s[0:1], s8, v6
	v_addc_co_u32_e64 v7, s[0:1], v1, v7, s[0:1]
	global_load_dword v1, v[6:7], off offset:520
	s_waitcnt vmcnt(0)
	v_mul_f16_sdwa v6, v25, v1 dst_sel:DWORD dst_unused:UNUSED_PAD src0_sel:DWORD src1_sel:WORD_1
	v_mul_f16_sdwa v7, v5, v1 dst_sel:DWORD dst_unused:UNUSED_PAD src0_sel:DWORD src1_sel:WORD_1
	v_fma_f16 v5, v5, v1, -v6
	v_fma_f16 v1, v25, v1, v7
	v_sub_f16_e32 v5, v4, v5
	v_sub_f16_e32 v1, v16, v1
	v_fma_f16 v4, v4, 2.0, -v5
	v_fma_f16 v6, v16, 2.0, -v1
	v_pack_b32_f16 v1, v5, v1
	v_pack_b32_f16 v4, v4, v6
	v_add_u32_e32 v5, 0x200, v23
	ds_write2_b32 v5, v4, v1 offset0:2 offset1:145
.LBB0_17:
	s_or_b64 exec, exec, s[2:3]
	s_waitcnt lgkmcnt(0)
	; wave barrier
	s_waitcnt lgkmcnt(0)
	s_and_saveexec_b64 s[0:1], vcc
	s_cbranch_execz .LBB0_19
; %bb.18:
	v_mad_u64_u32 v[4:5], s[0:1], s12, v0, 0
	v_add_co_u32_e32 v10, vcc, s14, v2
	v_mov_b32_e32 v1, v5
	v_mad_u64_u32 v[5:6], s[0:1], s13, v0, v[1:2]
	v_mov_b32_e32 v1, s15
	v_addc_co_u32_e32 v11, vcc, v1, v3, vcc
	v_lshlrev_b64 v[1:2], 2, v[4:5]
	v_mad_u64_u32 v[3:4], s[0:1], s12, v19, 0
	ds_read2_b32 v[6:7], v20 offset1:26
	v_add_co_u32_e32 v1, vcc, v10, v1
	v_mad_u64_u32 v[4:5], s[0:1], s13, v19, v[4:5]
	v_addc_co_u32_e32 v2, vcc, v11, v2, vcc
	v_mad_u64_u32 v[8:9], s[0:1], s12, v18, 0
	s_waitcnt lgkmcnt(0)
	global_store_dword v[1:2], v6, off
	v_lshlrev_b64 v[1:2], 2, v[3:4]
	v_mov_b32_e32 v3, v9
	v_add_co_u32_e32 v1, vcc, v10, v1
	v_addc_co_u32_e32 v2, vcc, v11, v2, vcc
	v_mad_u64_u32 v[3:4], s[0:1], s13, v18, v[3:4]
	global_store_dword v[1:2], v7, off
	v_add_u32_e32 v7, 0x4e, v0
	v_mad_u64_u32 v[5:6], s[0:1], s12, v7, 0
	v_mov_b32_e32 v9, v3
	ds_read2_b32 v[1:2], v20 offset0:52 offset1:78
	v_lshlrev_b64 v[3:4], 2, v[8:9]
	v_mad_u64_u32 v[6:7], s[0:1], s13, v7, v[6:7]
	v_add_u32_e32 v9, 0x68, v0
	v_mad_u64_u32 v[7:8], s[0:1], s12, v9, 0
	v_add_co_u32_e32 v3, vcc, v10, v3
	v_addc_co_u32_e32 v4, vcc, v11, v4, vcc
	s_waitcnt lgkmcnt(0)
	global_store_dword v[3:4], v1, off
	v_mov_b32_e32 v1, v8
	v_lshlrev_b64 v[3:4], 2, v[5:6]
	v_mad_u64_u32 v[5:6], s[0:1], s13, v9, v[1:2]
	v_add_co_u32_e32 v3, vcc, v10, v3
	v_mov_b32_e32 v8, v5
	v_mad_u64_u32 v[5:6], s[0:1], s12, v15, 0
	v_addc_co_u32_e32 v4, vcc, v11, v4, vcc
	global_store_dword v[3:4], v2, off
	ds_read2_b32 v[1:2], v20 offset0:104 offset1:130
	v_lshlrev_b64 v[3:4], 2, v[7:8]
	v_mad_u64_u32 v[6:7], s[0:1], s13, v15, v[6:7]
	v_add_u32_e32 v9, 0x9c, v0
	v_mad_u64_u32 v[7:8], s[0:1], s12, v9, 0
	v_add_co_u32_e32 v3, vcc, v10, v3
	v_addc_co_u32_e32 v4, vcc, v11, v4, vcc
	s_waitcnt lgkmcnt(0)
	global_store_dword v[3:4], v1, off
	v_mov_b32_e32 v1, v8
	v_lshlrev_b64 v[3:4], 2, v[5:6]
	v_mad_u64_u32 v[5:6], s[0:1], s13, v9, v[1:2]
	v_add_co_u32_e32 v3, vcc, v10, v3
	v_addc_co_u32_e32 v4, vcc, v11, v4, vcc
	v_mov_b32_e32 v8, v5
	global_store_dword v[3:4], v2, off
	v_lshlrev_b64 v[3:4], 2, v[7:8]
	v_add_u32_e32 v7, 0xb6, v0
	v_mad_u64_u32 v[5:6], s[0:1], s12, v7, 0
	ds_read2_b32 v[1:2], v20 offset0:156 offset1:182
	v_add_u32_e32 v9, 0xd0, v0
	v_mad_u64_u32 v[6:7], s[0:1], s13, v7, v[6:7]
	v_mad_u64_u32 v[7:8], s[0:1], s12, v9, 0
	v_add_co_u32_e32 v3, vcc, v10, v3
	v_addc_co_u32_e32 v4, vcc, v11, v4, vcc
	s_waitcnt lgkmcnt(0)
	global_store_dword v[3:4], v1, off
	v_mov_b32_e32 v1, v8
	v_lshlrev_b64 v[3:4], 2, v[5:6]
	v_mad_u64_u32 v[5:6], s[0:1], s13, v9, v[1:2]
	v_add_co_u32_e32 v3, vcc, v10, v3
	v_addc_co_u32_e32 v4, vcc, v11, v4, vcc
	v_mov_b32_e32 v8, v5
	global_store_dword v[3:4], v2, off
	v_lshlrev_b64 v[3:4], 2, v[7:8]
	v_add_u32_e32 v7, 0xea, v0
	v_mad_u64_u32 v[5:6], s[0:1], s12, v7, 0
	ds_read2_b32 v[1:2], v20 offset0:208 offset1:234
	v_add_u32_e32 v9, 0x104, v0
	v_mad_u64_u32 v[6:7], s[0:1], s13, v7, v[6:7]
	v_mad_u64_u32 v[7:8], s[0:1], s12, v9, 0
	v_add_co_u32_e32 v3, vcc, v10, v3
	v_addc_co_u32_e32 v4, vcc, v11, v4, vcc
	s_waitcnt lgkmcnt(0)
	global_store_dword v[3:4], v1, off
	v_mov_b32_e32 v3, v8
	v_lshlrev_b64 v[0:1], 2, v[5:6]
	v_mad_u64_u32 v[3:4], s[0:1], s13, v9, v[3:4]
	v_add_co_u32_e32 v0, vcc, v10, v0
	v_addc_co_u32_e32 v1, vcc, v11, v1, vcc
	global_store_dword v[0:1], v2, off
	v_mov_b32_e32 v8, v3
	ds_read_b32 v2, v20 offset:1040
	v_lshlrev_b64 v[0:1], 2, v[7:8]
	v_add_co_u32_e32 v0, vcc, v10, v0
	v_addc_co_u32_e32 v1, vcc, v11, v1, vcc
	s_waitcnt lgkmcnt(0)
	global_store_dword v[0:1], v2, off
.LBB0_19:
	s_endpgm
	.section	.rodata,"a",@progbits
	.p2align	6, 0x0
	.amdhsa_kernel fft_rtc_fwd_len286_factors_13_11_2_wgs_52_tpt_26_half_ip_CI_sbrr_dirReg
		.amdhsa_group_segment_fixed_size 0
		.amdhsa_private_segment_fixed_size 0
		.amdhsa_kernarg_size 88
		.amdhsa_user_sgpr_count 6
		.amdhsa_user_sgpr_private_segment_buffer 1
		.amdhsa_user_sgpr_dispatch_ptr 0
		.amdhsa_user_sgpr_queue_ptr 0
		.amdhsa_user_sgpr_kernarg_segment_ptr 1
		.amdhsa_user_sgpr_dispatch_id 0
		.amdhsa_user_sgpr_flat_scratch_init 0
		.amdhsa_user_sgpr_private_segment_size 0
		.amdhsa_uses_dynamic_stack 0
		.amdhsa_system_sgpr_private_segment_wavefront_offset 0
		.amdhsa_system_sgpr_workgroup_id_x 1
		.amdhsa_system_sgpr_workgroup_id_y 0
		.amdhsa_system_sgpr_workgroup_id_z 0
		.amdhsa_system_sgpr_workgroup_info 0
		.amdhsa_system_vgpr_workitem_id 0
		.amdhsa_next_free_vgpr 83
		.amdhsa_next_free_sgpr 27
		.amdhsa_reserve_vcc 1
		.amdhsa_reserve_flat_scratch 0
		.amdhsa_float_round_mode_32 0
		.amdhsa_float_round_mode_16_64 0
		.amdhsa_float_denorm_mode_32 3
		.amdhsa_float_denorm_mode_16_64 3
		.amdhsa_dx10_clamp 1
		.amdhsa_ieee_mode 1
		.amdhsa_fp16_overflow 0
		.amdhsa_exception_fp_ieee_invalid_op 0
		.amdhsa_exception_fp_denorm_src 0
		.amdhsa_exception_fp_ieee_div_zero 0
		.amdhsa_exception_fp_ieee_overflow 0
		.amdhsa_exception_fp_ieee_underflow 0
		.amdhsa_exception_fp_ieee_inexact 0
		.amdhsa_exception_int_div_zero 0
	.end_amdhsa_kernel
	.text
.Lfunc_end0:
	.size	fft_rtc_fwd_len286_factors_13_11_2_wgs_52_tpt_26_half_ip_CI_sbrr_dirReg, .Lfunc_end0-fft_rtc_fwd_len286_factors_13_11_2_wgs_52_tpt_26_half_ip_CI_sbrr_dirReg
                                        ; -- End function
	.section	.AMDGPU.csdata,"",@progbits
; Kernel info:
; codeLenInByte = 8660
; NumSgprs: 31
; NumVgprs: 83
; ScratchSize: 0
; MemoryBound: 0
; FloatMode: 240
; IeeeMode: 1
; LDSByteSize: 0 bytes/workgroup (compile time only)
; SGPRBlocks: 3
; VGPRBlocks: 20
; NumSGPRsForWavesPerEU: 31
; NumVGPRsForWavesPerEU: 83
; Occupancy: 3
; WaveLimiterHint : 1
; COMPUTE_PGM_RSRC2:SCRATCH_EN: 0
; COMPUTE_PGM_RSRC2:USER_SGPR: 6
; COMPUTE_PGM_RSRC2:TRAP_HANDLER: 0
; COMPUTE_PGM_RSRC2:TGID_X_EN: 1
; COMPUTE_PGM_RSRC2:TGID_Y_EN: 0
; COMPUTE_PGM_RSRC2:TGID_Z_EN: 0
; COMPUTE_PGM_RSRC2:TIDIG_COMP_CNT: 0
	.type	__hip_cuid_dc4efe4f3c758290,@object ; @__hip_cuid_dc4efe4f3c758290
	.section	.bss,"aw",@nobits
	.globl	__hip_cuid_dc4efe4f3c758290
__hip_cuid_dc4efe4f3c758290:
	.byte	0                               ; 0x0
	.size	__hip_cuid_dc4efe4f3c758290, 1

	.ident	"AMD clang version 19.0.0git (https://github.com/RadeonOpenCompute/llvm-project roc-6.4.0 25133 c7fe45cf4b819c5991fe208aaa96edf142730f1d)"
	.section	".note.GNU-stack","",@progbits
	.addrsig
	.addrsig_sym __hip_cuid_dc4efe4f3c758290
	.amdgpu_metadata
---
amdhsa.kernels:
  - .args:
      - .actual_access:  read_only
        .address_space:  global
        .offset:         0
        .size:           8
        .value_kind:     global_buffer
      - .offset:         8
        .size:           8
        .value_kind:     by_value
      - .actual_access:  read_only
        .address_space:  global
        .offset:         16
        .size:           8
        .value_kind:     global_buffer
      - .actual_access:  read_only
        .address_space:  global
        .offset:         24
        .size:           8
        .value_kind:     global_buffer
      - .offset:         32
        .size:           8
        .value_kind:     by_value
      - .actual_access:  read_only
        .address_space:  global
        .offset:         40
        .size:           8
        .value_kind:     global_buffer
      - .actual_access:  read_only
        .address_space:  global
        .offset:         48
        .size:           8
        .value_kind:     global_buffer
      - .offset:         56
        .size:           4
        .value_kind:     by_value
      - .actual_access:  read_only
        .address_space:  global
        .offset:         64
        .size:           8
        .value_kind:     global_buffer
      - .actual_access:  read_only
        .address_space:  global
        .offset:         72
        .size:           8
        .value_kind:     global_buffer
      - .address_space:  global
        .offset:         80
        .size:           8
        .value_kind:     global_buffer
    .group_segment_fixed_size: 0
    .kernarg_segment_align: 8
    .kernarg_segment_size: 88
    .language:       OpenCL C
    .language_version:
      - 2
      - 0
    .max_flat_workgroup_size: 52
    .name:           fft_rtc_fwd_len286_factors_13_11_2_wgs_52_tpt_26_half_ip_CI_sbrr_dirReg
    .private_segment_fixed_size: 0
    .sgpr_count:     31
    .sgpr_spill_count: 0
    .symbol:         fft_rtc_fwd_len286_factors_13_11_2_wgs_52_tpt_26_half_ip_CI_sbrr_dirReg.kd
    .uniform_work_group_size: 1
    .uses_dynamic_stack: false
    .vgpr_count:     83
    .vgpr_spill_count: 0
    .wavefront_size: 64
amdhsa.target:   amdgcn-amd-amdhsa--gfx906
amdhsa.version:
  - 1
  - 2
...

	.end_amdgpu_metadata
